;; amdgpu-corpus repo=ROCm/rocFFT kind=compiled arch=gfx1201 opt=O3
	.text
	.amdgcn_target "amdgcn-amd-amdhsa--gfx1201"
	.amdhsa_code_object_version 6
	.protected	fft_rtc_back_len625_factors_5_5_5_5_wgs_125_tpt_125_half_op_CI_CI_sbrc_erc_z_xy_unaligned_dirReg ; -- Begin function fft_rtc_back_len625_factors_5_5_5_5_wgs_125_tpt_125_half_op_CI_CI_sbrc_erc_z_xy_unaligned_dirReg
	.globl	fft_rtc_back_len625_factors_5_5_5_5_wgs_125_tpt_125_half_op_CI_CI_sbrc_erc_z_xy_unaligned_dirReg
	.p2align	8
	.type	fft_rtc_back_len625_factors_5_5_5_5_wgs_125_tpt_125_half_op_CI_CI_sbrc_erc_z_xy_unaligned_dirReg,@function
fft_rtc_back_len625_factors_5_5_5_5_wgs_125_tpt_125_half_op_CI_CI_sbrc_erc_z_xy_unaligned_dirReg: ; @fft_rtc_back_len625_factors_5_5_5_5_wgs_125_tpt_125_half_op_CI_CI_sbrc_erc_z_xy_unaligned_dirReg
; %bb.0:
	s_load_b256 s[4:11], s[0:1], 0x0
	v_dual_mov_b32 v2, 0 :: v_dual_add_nc_u32 v5, 0x1f4, v0
	v_cmp_gt_u32_e32 vcc_lo, 0x1f4, v0
	v_add_nc_u32_e32 v3, 0xfffffd8f, v0
	v_add_nc_u32_e32 v24, 0xfa, v0
	;; [unrolled: 1-line block ×3, first 2 shown]
	s_wait_kmcnt 0x0
	s_load_b128 s[16:19], s[8:9], 0x8
	s_clause 0x1
	s_load_b128 s[12:15], s[0:1], 0x58
	s_load_b64 s[22:23], s[0:1], 0x20
	s_wait_kmcnt 0x0
	s_mov_b32 s17, 0
	s_load_b32 s25, s[10:11], 0x10
	s_mov_b32 s19, s17
	s_mov_b32 s9, s17
	s_mul_i32 s2, s18, s16
	s_cvt_f32_u32 s1, s16
	s_cvt_f32_u32 s3, s2
	s_delay_alu instid0(SALU_CYCLE_2) | instskip(NEXT) | instid1(SALU_CYCLE_2)
	v_rcp_iflag_f32_e32 v4, s1
	v_rcp_iflag_f32_e32 v1, s3
	s_delay_alu instid0(TRANS32_DEP_1) | instskip(SKIP_1) | instid1(VALU_DEP_2)
	v_readfirstlane_b32 s3, v1
	v_mov_b32_e32 v1, 0x7d
	s_mul_f32 s0, s3, 0x4f7ffffe
	s_sub_co_i32 s3, 0, s2
	s_delay_alu instid0(VALU_DEP_1) | instskip(SKIP_3) | instid1(VALU_DEP_2)
	v_cndmask_b32_e32 v1, 0xfffffe0c, v1, vcc_lo
	v_cmp_gt_u32_e32 vcc_lo, 0x271, v0
	s_wait_alu 0xfffe
	s_cvt_u32_f32 s0, s0
	v_add_nc_u32_e32 v28, v1, v0
	s_wait_alu 0xfffe
	s_delay_alu instid0(SALU_CYCLE_1)
	s_mul_i32 s3, s3, s0
	s_wait_alu 0xfffd
	v_cndmask_b32_e32 v27, v3, v0, vcc_lo
	s_wait_alu 0xfffe
	s_mul_hi_u32 s1, s0, s3
	v_readfirstlane_b32 s3, v4
	s_wait_alu 0xfffe
	s_add_co_i32 s0, s0, s1
	v_mul_u32_u24_e32 v4, 0x69, v5
	s_wait_alu 0xfffe
	s_mul_hi_u32 s0, ttmp9, s0
	v_cmp_lt_u32_e32 vcc_lo, 0x270, v0
	s_wait_alu 0xfffe
	s_mul_i32 s1, s0, s2
	s_add_co_i32 s8, s0, 1
	s_wait_alu 0xfffe
	s_sub_co_i32 s1, ttmp9, s1
	s_mul_f32 s3, s3, 0x4f7ffffe
	s_wait_alu 0xfffe
	s_sub_co_i32 s18, s1, s2
	s_cmp_ge_u32 s1, s2
	v_lshrrev_b32_e32 v26, 16, v4
	s_cselect_b32 s0, s8, s0
	s_cselect_b32 s1, s18, s1
	s_wait_alu 0xfffe
	s_add_co_i32 s8, s0, 1
	s_cmp_ge_u32 s1, s2
	s_cvt_u32_f32 s1, s3
	s_cselect_b32 s18, s8, s0
	s_sub_co_i32 s0, 0, s16
	s_mul_i32 s2, s18, s2
	s_wait_alu 0xfffe
	s_mul_i32 s0, s0, s1
	s_wait_alu 0xfffe
	s_sub_co_i32 s8, ttmp9, s2
	s_mul_hi_u32 s0, s1, s0
	v_mul_lo_u16 v4, 0x271, v26
	s_wait_alu 0xfffe
	s_add_co_i32 s20, s1, s0
	s_load_b128 s[0:3], s[10:11], 0x0
	s_mul_hi_u32 s21, s8, s20
	s_mul_hi_u32 s20, ttmp9, s20
	s_wait_kmcnt 0x0
	s_mul_i32 s3, s21, s16
	s_mul_i32 s20, s20, s16
	s_wait_alu 0xfffe
	s_sub_co_i32 s3, s8, s3
	s_add_co_i32 s8, s21, 1
	s_wait_alu 0xfffe
	s_sub_co_i32 s24, s3, s16
	s_cmp_ge_u32 s3, s16
	v_sub_nc_u16 v3, v5, v4
	s_cselect_b32 s8, s8, s21
	s_cselect_b32 s3, s24, s3
	s_add_co_i32 s21, s8, 1
	s_wait_alu 0xfffe
	s_cmp_ge_u32 s3, s16
	v_and_b32_e32 v29, 0xffff, v3
	s_cselect_b32 s24, s21, s8
	s_sub_co_i32 s3, ttmp9, s20
	s_mov_b32 s21, s17
	s_wait_alu 0xfffe
	s_sub_co_i32 s8, s3, s16
	s_cmp_ge_u32 s3, s16
	v_mad_co_u64_u32 v[3:4], null, s0, v27, 0
	s_cselect_b32 s3, s8, s3
	v_mad_co_u64_u32 v[5:6], null, s0, v28, 0
	s_wait_alu 0xfffe
	s_sub_co_i32 s8, s3, s16
	s_cmp_ge_u32 s3, s16
	v_mad_co_u64_u32 v[7:8], null, s0, v24, 0
	s_cselect_b32 s20, s8, s3
	s_lshl_b64 s[6:7], s[6:7], 3
	v_mad_co_u64_u32 v[9:10], null, s0, v25, 0
	s_add_nc_u64 s[10:11], s[10:11], s[6:7]
	v_mad_co_u64_u32 v[17:18], null, s1, v27, v[4:5]
	s_load_b64 s[10:11], s[10:11], 0x0
	s_delay_alu instid0(VALU_DEP_3) | instskip(SKIP_4) | instid1(VALU_DEP_4)
	v_mad_co_u64_u32 v[18:19], null, s1, v28, v[6:7]
	v_cndmask_b32_e64 v1, 0, s2, vcc_lo
	v_mad_co_u64_u32 v[11:12], null, s0, v29, 0
	v_cmp_lt_u32_e64 s0, 0x1f3, v0
	v_mad_co_u64_u32 v[19:20], null, s1, v24, v[8:9]
	v_lshlrev_b64_e32 v[13:14], 2, v[1:2]
	v_mov_b32_e32 v4, v17
	s_wait_alu 0xf1ff
	v_cndmask_b32_e64 v1, 0, s2, s0
	s_mul_i32 s3, s24, s25
	s_mul_i32 s8, s20, s2
	v_mov_b32_e32 v6, v18
	v_mov_b32_e32 v8, v19
	v_mad_co_u64_u32 v[20:21], null, s1, v25, v[10:11]
	s_wait_alu 0xfffe
	s_add_co_i32 s8, s8, s3
	v_lshlrev_b64_e32 v[15:16], 2, v[1:2]
	v_mul_lo_u32 v1, s2, v26
	s_wait_kmcnt 0x0
	s_mul_u64 s[2:3], s[10:11], s[18:19]
	v_mad_co_u64_u32 v[21:22], null, s1, v29, v[12:13]
	s_wait_alu 0xfffe
	s_lshl_b64 s[2:3], s[2:3], 2
	v_lshlrev_b64_e32 v[3:4], 2, v[3:4]
	s_lshl_b64 s[8:9], s[8:9], 2
	s_wait_alu 0xfffe
	s_add_nc_u64 s[2:3], s[12:13], s[2:3]
	v_lshlrev_b64_e32 v[5:6], 2, v[5:6]
	v_mov_b32_e32 v10, v20
	s_wait_alu 0xfffe
	s_add_nc_u64 s[2:3], s[2:3], s[8:9]
	v_lshlrev_b64_e32 v[22:23], 2, v[1:2]
	v_lshlrev_b64_e32 v[7:8], 2, v[7:8]
	s_wait_alu 0xfffe
	v_add_co_u32 v1, s1, s2, v3
	v_mov_b32_e32 v12, v21
	s_wait_alu 0xf1ff
	v_add_co_ci_u32_e64 v17, s1, s3, v4, s1
	v_lshlrev_b64_e32 v[9:10], 2, v[9:10]
	v_add_co_u32 v18, s1, s2, v5
	s_wait_alu 0xf1ff
	v_add_co_ci_u32_e64 v19, s1, s3, v6, s1
	v_lshlrev_b64_e32 v[11:12], 2, v[11:12]
	v_add_co_u32 v3, s1, s2, v7
	s_wait_alu 0xf1ff
	v_add_co_ci_u32_e64 v4, s1, s3, v8, s1
	v_add_co_u32 v5, s1, s2, v9
	s_wait_alu 0xf1ff
	v_add_co_ci_u32_e64 v6, s1, s3, v10, s1
	;; [unrolled: 3-line block ×6, first 2 shown]
	s_clause 0x4
	global_load_b32 v1, v[7:8], off
	global_load_b32 v7, v[9:10], off
	;; [unrolled: 1-line block ×5, first 2 shown]
	v_mul_u32_u24_e32 v3, 0x20d, v0
	v_lshlrev_b32_e32 v11, 2, v27
	v_cndmask_b32_e64 v17, 0, 0x9c8, vcc_lo
	v_lshlrev_b32_e32 v12, 2, v28
	v_cndmask_b32_e64 v18, 0, 0x9c8, s0
	v_lshrrev_b32_e32 v3, 16, v3
	v_mul_u32_u24_e32 v15, 0x9c8, v26
	v_lshlrev_b32_e32 v19, 2, v29
	v_add3_u32 v11, 0, v11, v17
	v_add3_u32 v12, 0, v12, v18
	v_mul_lo_u16 v3, 0x7d, v3
	v_lshl_add_u32 v9, v24, 2, 0
	v_lshl_add_u32 v10, v25, 2, 0
	s_add_nc_u64 s[0:1], s[22:23], s[6:7]
	v_add3_u32 v15, 0, v15, v19
	v_sub_nc_u16 v13, v0, v3
	s_clause 0x2
	s_load_b128 s[8:11], s[22:23], 0x0
	s_load_b64 s[2:3], s[22:23], 0x10
	s_load_b64 s[0:1], s[0:1], 0x0
	v_cmp_eq_u32_e32 vcc_lo, 0, v0
	s_wait_loadcnt 0x4
	ds_store_b32 v11, v1
	s_wait_loadcnt 0x3
	ds_store_b32 v12, v7
	;; [unrolled: 2-line block ×5, first 2 shown]
	v_and_b32_e32 v14, 0xffff, v13
	v_mul_lo_u16 v4, 0x67, v13
	global_wb scope:SCOPE_SE
	s_wait_dscnt 0x0
	s_wait_kmcnt 0x0
	s_barrier_signal -1
	s_barrier_wait -1
	v_lshl_add_u32 v3, v14, 2, 0
	v_lshrrev_b16 v16, 9, v4
	global_inv scope:SCOPE_SE
	v_lshlrev_b32_e32 v1, 4, v14
	s_mul_i32 s3, s2, 0x7d
	v_add_nc_u32_e32 v4, 0x200, v3
	ds_load_2addr_b32 v[5:6], v3 offset1:125
	ds_load_2addr_b32 v[7:8], v4 offset0:122 offset1:247
	ds_load_b32 v9, v3 offset:2000
	v_mul_lo_u16 v20, v16, 5
	global_wb scope:SCOPE_SE
	s_wait_dscnt 0x0
	s_barrier_signal -1
	s_barrier_wait -1
	global_inv scope:SCOPE_SE
	v_sub_nc_u16 v10, v13, v20
	v_and_b32_e32 v16, 0xffff, v16
	s_mul_i32 s16, s24, s10
	s_mul_u64 s[0:1], s[0:1], s[18:19]
	s_lshl_b64 s[6:7], s[16:17], 2
	v_and_b32_e32 v14, 0xff, v10
	v_add_nc_u32_e32 v10, v3, v1
	v_mul_u32_u24_e32 v16, 0x64, v16
	s_wait_alu 0xfffe
	s_lshl_b64 s[0:1], s[0:1], 2
	v_lshlrev_b32_e32 v11, 4, v14
	v_lshlrev_b32_e32 v14, 2, v14
	v_pk_add_f16 v12, v5, v6
	v_pk_add_f16 v15, v7, v8
	v_pk_add_f16 v17, v6, v9 neg_lo:[0,1] neg_hi:[0,1]
	v_pk_add_f16 v18, v7, v8 neg_lo:[0,1] neg_hi:[0,1]
	v_pk_add_f16 v21, v6, v9
	v_pk_add_f16 v19, v6, v7 neg_lo:[0,1] neg_hi:[0,1]
	v_pk_fma_f16 v15, v15, 0.5, v5 op_sel_hi:[1,0,1] neg_lo:[1,0,0] neg_hi:[1,0,0]
	v_pk_mul_f16 v23, 0x3b9c, v17 op_sel_hi:[0,1]
	v_pk_mul_f16 v17, 0x38b4, v17 op_sel_hi:[0,1]
	v_pk_fma_f16 v5, v21, 0.5, v5 op_sel_hi:[1,0,1] neg_lo:[1,0,0] neg_hi:[1,0,0]
	v_pk_mul_f16 v21, 0x3b9c, v18 op_sel_hi:[0,1]
	v_pk_mul_f16 v18, 0x38b4, v18 op_sel_hi:[0,1]
	v_pk_add_f16 v24, v15, v23 op_sel:[0,1] op_sel_hi:[1,0] neg_lo:[0,1] neg_hi:[0,1]
	v_pk_add_f16 v15, v15, v23 op_sel:[0,1] op_sel_hi:[1,0]
	v_pk_add_f16 v20, v9, v8 neg_lo:[0,1] neg_hi:[0,1]
	v_pk_add_f16 v23, v5, v21 op_sel:[0,1] op_sel_hi:[1,0]
	v_pk_add_f16 v5, v5, v21 op_sel:[0,1] op_sel_hi:[1,0] neg_lo:[0,1] neg_hi:[0,1]
	v_pk_add_f16 v6, v7, v6 neg_lo:[0,1] neg_hi:[0,1]
	v_pk_add_f16 v7, v12, v7
	v_pk_add_f16 v12, v24, v18 op_sel:[0,1] op_sel_hi:[1,0] neg_lo:[0,1] neg_hi:[0,1]
	v_pk_add_f16 v15, v15, v18 op_sel:[0,1] op_sel_hi:[1,0]
	v_pk_add_f16 v22, v8, v9 neg_lo:[0,1] neg_hi:[0,1]
	v_pk_add_f16 v18, v23, v17 op_sel:[0,1] op_sel_hi:[1,0] neg_lo:[0,1] neg_hi:[0,1]
	v_pk_add_f16 v5, v5, v17 op_sel:[0,1] op_sel_hi:[1,0]
	v_pk_add_f16 v17, v19, v20
	v_pk_add_f16 v7, v7, v8
	v_bfi_b32 v8, 0xffff, v12, v15
	v_pk_add_f16 v6, v6, v22
	v_bfi_b32 v19, 0xffff, v18, v5
	v_bfi_b32 v5, 0xffff, v5, v18
	v_bfi_b32 v12, 0xffff, v15, v12
	v_pk_add_f16 v7, v7, v9
	v_pk_fma_f16 v8, 0x34f2, v17, v8 op_sel_hi:[0,1,1]
	v_pk_fma_f16 v9, 0x34f2, v6, v19 op_sel_hi:[0,1,1]
	;; [unrolled: 1-line block ×4, first 2 shown]
	ds_store_2addr_b32 v10, v7, v8 offset1:1
	ds_store_2addr_b32 v10, v9, v5 offset0:2 offset1:3
	ds_store_b32 v10, v6 offset:16
	global_wb scope:SCOPE_SE
	s_wait_dscnt 0x0
	s_barrier_signal -1
	s_barrier_wait -1
	global_inv scope:SCOPE_SE
	global_load_b128 v[5:8], v11, s[4:5]
	v_mul_lo_u16 v9, v13, 41
	v_add3_u32 v14, 0, v16, v14
	s_delay_alu instid0(VALU_DEP_2)
	v_lshrrev_b16 v15, 10, v9
	ds_load_2addr_b32 v[9:10], v3 offset1:125
	ds_load_2addr_b32 v[11:12], v4 offset0:122 offset1:247
	ds_load_b32 v18, v3 offset:2000
	v_mul_lo_u16 v17, v15, 25
	v_and_b32_e32 v15, 0xffff, v15
	s_delay_alu instid0(VALU_DEP_2)
	v_sub_nc_u16 v13, v13, v17
	ds_load_u16 v17, v3 offset:2
	global_wb scope:SCOPE_SE
	s_wait_loadcnt_dscnt 0x0
	s_barrier_signal -1
	s_barrier_wait -1
	v_and_b32_e32 v13, 0xff, v13
	global_inv scope:SCOPE_SE
	v_mul_u32_u24_e32 v15, 0x1f4, v15
	v_lshrrev_b32_e32 v16, 16, v10
	v_lshrrev_b32_e32 v20, 16, v11
	;; [unrolled: 1-line block ×4, first 2 shown]
	v_lshlrev_b32_e32 v19, 4, v13
	v_lshlrev_b32_e32 v13, 2, v13
	s_delay_alu instid0(VALU_DEP_1) | instskip(SKIP_4) | instid1(VALU_DEP_4)
	v_add3_u32 v13, 0, v15, v13
	v_lshrrev_b32_e32 v22, 16, v5
	v_lshrrev_b32_e32 v24, 16, v6
	;; [unrolled: 1-line block ×4, first 2 shown]
	v_mul_f16_e32 v27, v22, v16
	v_mul_f16_e32 v22, v22, v10
	;; [unrolled: 1-line block ×8, first 2 shown]
	v_fmac_f16_e32 v27, v5, v10
	v_fma_f16 v5, v5, v16, -v22
	v_fmac_f16_e32 v28, v6, v11
	v_fma_f16 v6, v6, v20, -v24
	;; [unrolled: 2-line block ×4, first 2 shown]
	v_add_f16_e32 v24, v17, v5
	v_add_f16_e32 v11, v28, v29
	v_add_f16_e32 v25, v6, v7
	v_add_f16_e32 v21, v27, v30
	v_add_f16_e32 v33, v5, v10
	v_add_f16_e32 v8, v27, v9
	v_sub_f16_e32 v12, v5, v10
	v_sub_f16_e32 v16, v6, v7
	;; [unrolled: 1-line block ×9, first 2 shown]
	v_fma_f16 v11, -0.5, v11, v9
	v_fmac_f16_e32 v9, -0.5, v21
	v_add_f16_e32 v6, v24, v6
	v_fma_f16 v21, -0.5, v25, v17
	v_sub_f16_e32 v27, v28, v29
	v_fmac_f16_e32 v17, -0.5, v33
	v_sub_f16_e32 v32, v10, v7
	v_sub_f16_e32 v34, v7, v10
	v_add_f16_e32 v8, v8, v28
	v_add_f16_e32 v18, v18, v20
	;; [unrolled: 1-line block ×3, first 2 shown]
	v_fmamk_f16 v23, v12, 0xbb9c, v11
	v_add_f16_e32 v6, v6, v7
	v_fmamk_f16 v7, v26, 0x3b9c, v21
	v_fmamk_f16 v24, v16, 0x3b9c, v9
	v_fmac_f16_e32 v9, 0xbb9c, v16
	v_fmamk_f16 v25, v27, 0xbb9c, v17
	v_fmac_f16_e32 v17, 0x3b9c, v27
	v_fmac_f16_e32 v11, 0x3b9c, v12
	;; [unrolled: 1-line block ×3, first 2 shown]
	v_add_f16_e32 v22, v31, v32
	v_add_f16_e32 v8, v8, v29
	v_fmac_f16_e32 v23, 0xb8b4, v16
	v_fmac_f16_e32 v7, 0x38b4, v27
	v_add_f16_e32 v5, v5, v34
	v_fmac_f16_e32 v24, 0xb8b4, v12
	v_fmac_f16_e32 v9, 0x38b4, v12
	;; [unrolled: 1-line block ×6, first 2 shown]
	v_add_f16_e32 v8, v8, v30
	v_add_f16_e32 v6, v6, v10
	v_fmac_f16_e32 v23, 0x34f2, v18
	v_fmac_f16_e32 v7, 0x34f2, v22
	;; [unrolled: 1-line block ×8, first 2 shown]
	v_pack_b32_f16 v5, v8, v6
	v_pack_b32_f16 v6, v23, v7
	v_pack_b32_f16 v7, v24, v25
	v_pack_b32_f16 v8, v9, v17
	v_pack_b32_f16 v9, v11, v21
	ds_store_2addr_b32 v14, v5, v6 offset1:5
	ds_store_2addr_b32 v14, v7, v8 offset0:10 offset1:15
	ds_store_b32 v14, v9 offset:80
	global_wb scope:SCOPE_SE
	s_wait_dscnt 0x0
	s_barrier_signal -1
	s_barrier_wait -1
	global_inv scope:SCOPE_SE
	global_load_b128 v[5:8], v19, s[4:5] offset:80
	ds_load_2addr_b32 v[9:10], v3 offset1:125
	ds_load_2addr_b32 v[11:12], v4 offset0:122 offset1:247
	ds_load_b32 v14, v3 offset:2000
	ds_load_u16 v16, v3 offset:2
	global_wb scope:SCOPE_SE
	s_wait_loadcnt_dscnt 0x0
	s_barrier_signal -1
	s_barrier_wait -1
	global_inv scope:SCOPE_SE
	v_lshrrev_b32_e32 v15, 16, v10
	v_lshrrev_b32_e32 v17, 16, v11
	;; [unrolled: 1-line block ×8, first 2 shown]
	s_delay_alu instid0(VALU_DEP_4)
	v_mul_f16_e32 v24, v19, v15
	v_mul_f16_e32 v19, v19, v10
	;; [unrolled: 1-line block ×8, first 2 shown]
	v_fmac_f16_e32 v24, v5, v10
	v_fma_f16 v5, v5, v15, -v19
	v_fmac_f16_e32 v25, v6, v11
	v_fma_f16 v6, v6, v17, -v21
	;; [unrolled: 2-line block ×4, first 2 shown]
	v_add_f16_e32 v21, v16, v5
	v_add_f16_e32 v11, v25, v26
	;; [unrolled: 1-line block ×6, first 2 shown]
	v_sub_f16_e32 v12, v5, v10
	v_sub_f16_e32 v14, v6, v7
	;; [unrolled: 1-line block ×9, first 2 shown]
	v_fma_f16 v11, -0.5, v11, v9
	v_fmac_f16_e32 v9, -0.5, v18
	v_add_f16_e32 v6, v21, v6
	v_fma_f16 v18, -0.5, v22, v16
	v_sub_f16_e32 v24, v25, v26
	v_fmac_f16_e32 v16, -0.5, v30
	v_sub_f16_e32 v29, v10, v7
	v_sub_f16_e32 v31, v7, v10
	v_add_f16_e32 v8, v8, v25
	v_add_f16_e32 v15, v15, v17
	;; [unrolled: 1-line block ×3, first 2 shown]
	v_fmamk_f16 v20, v12, 0xbb9c, v11
	v_add_f16_e32 v6, v6, v7
	v_fmamk_f16 v7, v23, 0x3b9c, v18
	v_fmamk_f16 v21, v14, 0x3b9c, v9
	v_fmac_f16_e32 v9, 0xbb9c, v14
	v_fmamk_f16 v22, v24, 0xbb9c, v16
	v_fmac_f16_e32 v16, 0x3b9c, v24
	v_fmac_f16_e32 v11, 0x3b9c, v12
	;; [unrolled: 1-line block ×3, first 2 shown]
	v_add_f16_e32 v19, v28, v29
	v_add_f16_e32 v8, v8, v26
	v_fmac_f16_e32 v20, 0xb8b4, v14
	v_fmac_f16_e32 v7, 0x38b4, v24
	v_add_f16_e32 v5, v5, v31
	v_fmac_f16_e32 v21, 0xb8b4, v12
	v_fmac_f16_e32 v9, 0x38b4, v12
	;; [unrolled: 1-line block ×6, first 2 shown]
	v_add_f16_e32 v8, v8, v27
	v_add_f16_e32 v6, v6, v10
	v_fmac_f16_e32 v20, 0x34f2, v15
	v_fmac_f16_e32 v7, 0x34f2, v19
	v_fmac_f16_e32 v21, 0x34f2, v17
	v_fmac_f16_e32 v9, 0x34f2, v17
	v_fmac_f16_e32 v22, 0x34f2, v5
	v_fmac_f16_e32 v16, 0x34f2, v5
	v_fmac_f16_e32 v11, 0x34f2, v15
	v_fmac_f16_e32 v18, 0x34f2, v19
	v_pack_b32_f16 v5, v8, v6
	v_pack_b32_f16 v6, v20, v7
	;; [unrolled: 1-line block ×5, first 2 shown]
	ds_store_2addr_b32 v13, v5, v6 offset1:25
	ds_store_2addr_b32 v13, v7, v8 offset0:50 offset1:75
	ds_store_b32 v13, v9 offset:400
	global_wb scope:SCOPE_SE
	s_wait_dscnt 0x0
	s_barrier_signal -1
	s_barrier_wait -1
	global_inv scope:SCOPE_SE
	global_load_b128 v[5:8], v1, s[4:5] offset:480
	v_lshl_add_u32 v19, v0, 2, 0
	v_mul_lo_u32 v1, v0, s2
	ds_load_2addr_b32 v[9:10], v3 offset1:125
	ds_load_2addr_b32 v[11:12], v4 offset0:122 offset1:247
	ds_load_u16 v0, v3 offset:2
	ds_load_b32 v20, v3 offset:2000
	s_mul_u64 s[4:5], s[8:9], s[20:21]
	v_add_nc_u32_e32 v21, 0x200, v19
	s_lshl_b64 s[4:5], s[4:5], 2
	global_wb scope:SCOPE_SE
	s_wait_loadcnt_dscnt 0x0
	s_add_nc_u64 s[4:5], s[14:15], s[4:5]
	v_lshlrev_b64_e32 v[13:14], 2, v[1:2]
	v_add_nc_u32_e32 v1, s3, v1
	s_add_nc_u64 s[4:5], s[4:5], s[6:7]
	s_barrier_signal -1
	s_wait_alu 0xfffe
	s_add_nc_u64 s[4:5], s[4:5], s[0:1]
	s_barrier_wait -1
	v_lshlrev_b64_e32 v[15:16], 2, v[1:2]
	v_add_nc_u32_e32 v1, s3, v1
	global_inv scope:SCOPE_SE
	v_add_co_u32 v13, s0, s4, v13
	s_wait_alu 0xf1ff
	v_add_co_ci_u32_e64 v14, s0, s5, v14, s0
	v_lshrrev_b32_e32 v22, 16, v10
	v_lshrrev_b32_e32 v23, 16, v11
	;; [unrolled: 1-line block ×4, first 2 shown]
	v_lshlrev_b64_e32 v[17:18], 2, v[1:2]
	v_add_nc_u32_e32 v1, s3, v1
	v_lshrrev_b32_e32 v25, 16, v5
	v_lshrrev_b32_e32 v27, 16, v6
	;; [unrolled: 1-line block ×4, first 2 shown]
	s_delay_alu instid0(VALU_DEP_4)
	v_mul_f16_e32 v30, v25, v22
	v_mul_f16_e32 v25, v25, v10
	;; [unrolled: 1-line block ×8, first 2 shown]
	v_fmac_f16_e32 v30, v5, v10
	v_fma_f16 v5, v5, v22, -v25
	v_fmac_f16_e32 v31, v6, v11
	v_fma_f16 v6, v6, v23, -v27
	v_fmac_f16_e32 v32, v7, v12
	v_fma_f16 v7, v7, v24, -v28
	v_fmac_f16_e32 v33, v8, v20
	v_fma_f16 v10, v8, v26, -v29
	v_add_f16_e32 v27, v0, v5
	v_add_f16_e32 v11, v31, v32
	;; [unrolled: 1-line block ×6, first 2 shown]
	v_sub_f16_e32 v12, v5, v10
	v_sub_f16_e32 v20, v6, v7
	;; [unrolled: 1-line block ×9, first 2 shown]
	v_fma_f16 v11, -0.5, v11, v9
	v_fmac_f16_e32 v9, -0.5, v24
	v_add_f16_e32 v6, v27, v6
	v_fma_f16 v24, -0.5, v28, v0
	v_sub_f16_e32 v30, v31, v32
	v_fmac_f16_e32 v0, -0.5, v36
	v_sub_f16_e32 v35, v10, v7
	v_sub_f16_e32 v37, v7, v10
	v_add_f16_e32 v8, v8, v31
	v_add_f16_e32 v22, v22, v23
	;; [unrolled: 1-line block ×3, first 2 shown]
	v_fmamk_f16 v26, v12, 0xbb9c, v11
	v_add_f16_e32 v6, v6, v7
	v_fmamk_f16 v7, v29, 0x3b9c, v24
	v_fmamk_f16 v27, v20, 0x3b9c, v9
	v_fmac_f16_e32 v9, 0xbb9c, v20
	v_fmamk_f16 v28, v30, 0xbb9c, v0
	v_fmac_f16_e32 v0, 0x3b9c, v30
	v_fmac_f16_e32 v11, 0x3b9c, v12
	;; [unrolled: 1-line block ×3, first 2 shown]
	v_add_f16_e32 v25, v34, v35
	v_add_f16_e32 v8, v8, v32
	v_fmac_f16_e32 v26, 0xb8b4, v20
	v_fmac_f16_e32 v7, 0x38b4, v30
	v_add_f16_e32 v5, v5, v37
	v_fmac_f16_e32 v27, 0xb8b4, v12
	v_fmac_f16_e32 v9, 0x38b4, v12
	;; [unrolled: 1-line block ×6, first 2 shown]
	v_add_f16_e32 v8, v8, v33
	v_add_f16_e32 v6, v6, v10
	v_fmac_f16_e32 v26, 0x34f2, v22
	v_fmac_f16_e32 v7, 0x34f2, v25
	;; [unrolled: 1-line block ×8, first 2 shown]
	v_pack_b32_f16 v5, v8, v6
	v_pack_b32_f16 v6, v26, v7
	;; [unrolled: 1-line block ×5, first 2 shown]
	ds_store_2addr_b32 v3, v5, v6 offset1:125
	ds_store_2addr_b32 v4, v7, v0 offset0:122 offset1:247
	ds_store_b32 v3, v8 offset:2000
	global_wb scope:SCOPE_SE
	s_wait_dscnt 0x0
	s_barrier_signal -1
	s_barrier_wait -1
	global_inv scope:SCOPE_SE
	ds_load_2addr_b32 v[3:4], v19 offset1:125
	ds_load_2addr_b32 v[5:6], v21 offset0:122 offset1:247
	v_add_co_u32 v7, s0, s4, v15
	ds_load_b32 v15, v19 offset:2000
	v_lshlrev_b64_e32 v[9:10], 2, v[1:2]
	v_add_nc_u32_e32 v1, s3, v1
	s_wait_alu 0xf1ff
	v_add_co_ci_u32_e64 v8, s0, s5, v16, s0
	v_add_co_u32 v11, s0, s4, v17
	s_delay_alu instid0(VALU_DEP_3)
	v_lshlrev_b64_e32 v[0:1], 2, v[1:2]
	s_wait_alu 0xf1ff
	v_add_co_ci_u32_e64 v12, s0, s5, v18, s0
	v_add_co_u32 v9, s0, s4, v9
	s_wait_alu 0xf1ff
	v_add_co_ci_u32_e64 v10, s0, s5, v10, s0
	v_add_co_u32 v0, s0, s4, v0
	s_wait_alu 0xf1ff
	v_add_co_ci_u32_e64 v1, s0, s5, v1, s0
	s_wait_dscnt 0x2
	s_clause 0x1
	global_store_b32 v[13:14], v3, off
	global_store_b32 v[7:8], v4, off
	s_wait_dscnt 0x1
	s_clause 0x1
	global_store_b32 v[11:12], v5, off
	global_store_b32 v[9:10], v6, off
	s_wait_dscnt 0x0
	global_store_b32 v[0:1], v15, off
	s_and_saveexec_b32 s0, vcc_lo
	s_cbranch_execz .LBB0_2
; %bb.1:
	ds_load_b32 v0, v2 offset:2500
	s_mul_i32 s16, s2, 0x271
	s_delay_alu instid0(SALU_CYCLE_1)
	s_lshl_b64 s[0:1], s[16:17], 2
	s_wait_alu 0xfffe
	s_add_nc_u64 s[0:1], s[4:5], s[0:1]
	s_wait_dscnt 0x0
	global_store_b32 v2, v0, s[0:1]
.LBB0_2:
	s_nop 0
	s_sendmsg sendmsg(MSG_DEALLOC_VGPRS)
	s_endpgm
	.section	.rodata,"a",@progbits
	.p2align	6, 0x0
	.amdhsa_kernel fft_rtc_back_len625_factors_5_5_5_5_wgs_125_tpt_125_half_op_CI_CI_sbrc_erc_z_xy_unaligned_dirReg
		.amdhsa_group_segment_fixed_size 0
		.amdhsa_private_segment_fixed_size 0
		.amdhsa_kernarg_size 104
		.amdhsa_user_sgpr_count 2
		.amdhsa_user_sgpr_dispatch_ptr 0
		.amdhsa_user_sgpr_queue_ptr 0
		.amdhsa_user_sgpr_kernarg_segment_ptr 1
		.amdhsa_user_sgpr_dispatch_id 0
		.amdhsa_user_sgpr_private_segment_size 0
		.amdhsa_wavefront_size32 1
		.amdhsa_uses_dynamic_stack 0
		.amdhsa_enable_private_segment 0
		.amdhsa_system_sgpr_workgroup_id_x 1
		.amdhsa_system_sgpr_workgroup_id_y 0
		.amdhsa_system_sgpr_workgroup_id_z 0
		.amdhsa_system_sgpr_workgroup_info 0
		.amdhsa_system_vgpr_workitem_id 0
		.amdhsa_next_free_vgpr 38
		.amdhsa_next_free_sgpr 26
		.amdhsa_reserve_vcc 1
		.amdhsa_float_round_mode_32 0
		.amdhsa_float_round_mode_16_64 0
		.amdhsa_float_denorm_mode_32 3
		.amdhsa_float_denorm_mode_16_64 3
		.amdhsa_fp16_overflow 0
		.amdhsa_workgroup_processor_mode 1
		.amdhsa_memory_ordered 1
		.amdhsa_forward_progress 0
		.amdhsa_round_robin_scheduling 0
		.amdhsa_exception_fp_ieee_invalid_op 0
		.amdhsa_exception_fp_denorm_src 0
		.amdhsa_exception_fp_ieee_div_zero 0
		.amdhsa_exception_fp_ieee_overflow 0
		.amdhsa_exception_fp_ieee_underflow 0
		.amdhsa_exception_fp_ieee_inexact 0
		.amdhsa_exception_int_div_zero 0
	.end_amdhsa_kernel
	.text
.Lfunc_end0:
	.size	fft_rtc_back_len625_factors_5_5_5_5_wgs_125_tpt_125_half_op_CI_CI_sbrc_erc_z_xy_unaligned_dirReg, .Lfunc_end0-fft_rtc_back_len625_factors_5_5_5_5_wgs_125_tpt_125_half_op_CI_CI_sbrc_erc_z_xy_unaligned_dirReg
                                        ; -- End function
	.section	.AMDGPU.csdata,"",@progbits
; Kernel info:
; codeLenInByte = 4136
; NumSgprs: 28
; NumVgprs: 38
; ScratchSize: 0
; MemoryBound: 0
; FloatMode: 240
; IeeeMode: 1
; LDSByteSize: 0 bytes/workgroup (compile time only)
; SGPRBlocks: 3
; VGPRBlocks: 4
; NumSGPRsForWavesPerEU: 28
; NumVGPRsForWavesPerEU: 38
; Occupancy: 16
; WaveLimiterHint : 1
; COMPUTE_PGM_RSRC2:SCRATCH_EN: 0
; COMPUTE_PGM_RSRC2:USER_SGPR: 2
; COMPUTE_PGM_RSRC2:TRAP_HANDLER: 0
; COMPUTE_PGM_RSRC2:TGID_X_EN: 1
; COMPUTE_PGM_RSRC2:TGID_Y_EN: 0
; COMPUTE_PGM_RSRC2:TGID_Z_EN: 0
; COMPUTE_PGM_RSRC2:TIDIG_COMP_CNT: 0
	.text
	.p2alignl 7, 3214868480
	.fill 96, 4, 3214868480
	.type	__hip_cuid_e14767ed96b77026,@object ; @__hip_cuid_e14767ed96b77026
	.section	.bss,"aw",@nobits
	.globl	__hip_cuid_e14767ed96b77026
__hip_cuid_e14767ed96b77026:
	.byte	0                               ; 0x0
	.size	__hip_cuid_e14767ed96b77026, 1

	.ident	"AMD clang version 19.0.0git (https://github.com/RadeonOpenCompute/llvm-project roc-6.4.0 25133 c7fe45cf4b819c5991fe208aaa96edf142730f1d)"
	.section	".note.GNU-stack","",@progbits
	.addrsig
	.addrsig_sym __hip_cuid_e14767ed96b77026
	.amdgpu_metadata
---
amdhsa.kernels:
  - .args:
      - .actual_access:  read_only
        .address_space:  global
        .offset:         0
        .size:           8
        .value_kind:     global_buffer
      - .offset:         8
        .size:           8
        .value_kind:     by_value
      - .actual_access:  read_only
        .address_space:  global
        .offset:         16
        .size:           8
        .value_kind:     global_buffer
      - .actual_access:  read_only
        .address_space:  global
        .offset:         24
        .size:           8
        .value_kind:     global_buffer
      - .actual_access:  read_only
        .address_space:  global
        .offset:         32
        .size:           8
        .value_kind:     global_buffer
      - .offset:         40
        .size:           8
        .value_kind:     by_value
      - .actual_access:  read_only
        .address_space:  global
        .offset:         48
        .size:           8
        .value_kind:     global_buffer
      - .actual_access:  read_only
        .address_space:  global
        .offset:         56
        .size:           8
        .value_kind:     global_buffer
      - .offset:         64
        .size:           4
        .value_kind:     by_value
      - .actual_access:  read_only
        .address_space:  global
        .offset:         72
        .size:           8
        .value_kind:     global_buffer
      - .actual_access:  read_only
        .address_space:  global
        .offset:         80
        .size:           8
        .value_kind:     global_buffer
      - .actual_access:  read_only
        .address_space:  global
        .offset:         88
        .size:           8
        .value_kind:     global_buffer
      - .actual_access:  write_only
        .address_space:  global
        .offset:         96
        .size:           8
        .value_kind:     global_buffer
    .group_segment_fixed_size: 0
    .kernarg_segment_align: 8
    .kernarg_segment_size: 104
    .language:       OpenCL C
    .language_version:
      - 2
      - 0
    .max_flat_workgroup_size: 125
    .name:           fft_rtc_back_len625_factors_5_5_5_5_wgs_125_tpt_125_half_op_CI_CI_sbrc_erc_z_xy_unaligned_dirReg
    .private_segment_fixed_size: 0
    .sgpr_count:     28
    .sgpr_spill_count: 0
    .symbol:         fft_rtc_back_len625_factors_5_5_5_5_wgs_125_tpt_125_half_op_CI_CI_sbrc_erc_z_xy_unaligned_dirReg.kd
    .uniform_work_group_size: 1
    .uses_dynamic_stack: false
    .vgpr_count:     38
    .vgpr_spill_count: 0
    .wavefront_size: 32
    .workgroup_processor_mode: 1
amdhsa.target:   amdgcn-amd-amdhsa--gfx1201
amdhsa.version:
  - 1
  - 2
...

	.end_amdgpu_metadata
